;; amdgpu-corpus repo=ROCm/rocFFT kind=compiled arch=gfx906 opt=O3
	.text
	.amdgcn_target "amdgcn-amd-amdhsa--gfx906"
	.amdhsa_code_object_version 6
	.protected	fft_rtc_fwd_len1408_factors_2_2_2_2_2_2_11_2_wgs_176_tpt_176_halfLds_half_ip_CI_unitstride_sbrr_C2R_dirReg ; -- Begin function fft_rtc_fwd_len1408_factors_2_2_2_2_2_2_11_2_wgs_176_tpt_176_halfLds_half_ip_CI_unitstride_sbrr_C2R_dirReg
	.globl	fft_rtc_fwd_len1408_factors_2_2_2_2_2_2_11_2_wgs_176_tpt_176_halfLds_half_ip_CI_unitstride_sbrr_C2R_dirReg
	.p2align	8
	.type	fft_rtc_fwd_len1408_factors_2_2_2_2_2_2_11_2_wgs_176_tpt_176_halfLds_half_ip_CI_unitstride_sbrr_C2R_dirReg,@function
fft_rtc_fwd_len1408_factors_2_2_2_2_2_2_11_2_wgs_176_tpt_176_halfLds_half_ip_CI_unitstride_sbrr_C2R_dirReg: ; @fft_rtc_fwd_len1408_factors_2_2_2_2_2_2_11_2_wgs_176_tpt_176_halfLds_half_ip_CI_unitstride_sbrr_C2R_dirReg
; %bb.0:
	s_load_dwordx2 s[2:3], s[4:5], 0x50
	s_load_dwordx4 s[8:11], s[4:5], 0x0
	s_load_dwordx2 s[12:13], s[4:5], 0x18
	v_mul_u32_u24_e32 v1, 0x175, v0
	v_add_u32_sdwa v5, s6, v1 dst_sel:DWORD dst_unused:UNUSED_PAD src0_sel:DWORD src1_sel:WORD_1
	v_mov_b32_e32 v3, 0
	s_waitcnt lgkmcnt(0)
	v_cmp_lt_u64_e64 s[0:1], s[10:11], 2
	v_mov_b32_e32 v1, 0
	v_mov_b32_e32 v6, v3
	s_and_b64 vcc, exec, s[0:1]
	v_mov_b32_e32 v2, 0
	s_cbranch_vccnz .LBB0_8
; %bb.1:
	s_load_dwordx2 s[0:1], s[4:5], 0x10
	s_add_u32 s6, s12, 8
	s_addc_u32 s7, s13, 0
	v_mov_b32_e32 v1, 0
	v_mov_b32_e32 v2, 0
	s_waitcnt lgkmcnt(0)
	s_add_u32 s14, s0, 8
	s_addc_u32 s15, s1, 0
	s_mov_b64 s[16:17], 1
.LBB0_2:                                ; =>This Inner Loop Header: Depth=1
	s_load_dwordx2 s[18:19], s[14:15], 0x0
                                        ; implicit-def: $vgpr7_vgpr8
	s_waitcnt lgkmcnt(0)
	v_or_b32_e32 v4, s19, v6
	v_cmp_ne_u64_e32 vcc, 0, v[3:4]
	s_and_saveexec_b64 s[0:1], vcc
	s_xor_b64 s[20:21], exec, s[0:1]
	s_cbranch_execz .LBB0_4
; %bb.3:                                ;   in Loop: Header=BB0_2 Depth=1
	v_cvt_f32_u32_e32 v4, s18
	v_cvt_f32_u32_e32 v7, s19
	s_sub_u32 s0, 0, s18
	s_subb_u32 s1, 0, s19
	v_mac_f32_e32 v4, 0x4f800000, v7
	v_rcp_f32_e32 v4, v4
	v_mul_f32_e32 v4, 0x5f7ffffc, v4
	v_mul_f32_e32 v7, 0x2f800000, v4
	v_trunc_f32_e32 v7, v7
	v_mac_f32_e32 v4, 0xcf800000, v7
	v_cvt_u32_f32_e32 v7, v7
	v_cvt_u32_f32_e32 v4, v4
	v_mul_lo_u32 v8, s0, v7
	v_mul_hi_u32 v9, s0, v4
	v_mul_lo_u32 v11, s1, v4
	v_mul_lo_u32 v10, s0, v4
	v_add_u32_e32 v8, v9, v8
	v_add_u32_e32 v8, v8, v11
	v_mul_hi_u32 v9, v4, v10
	v_mul_lo_u32 v11, v4, v8
	v_mul_hi_u32 v13, v4, v8
	v_mul_hi_u32 v12, v7, v10
	v_mul_lo_u32 v10, v7, v10
	v_mul_hi_u32 v14, v7, v8
	v_add_co_u32_e32 v9, vcc, v9, v11
	v_addc_co_u32_e32 v11, vcc, 0, v13, vcc
	v_mul_lo_u32 v8, v7, v8
	v_add_co_u32_e32 v9, vcc, v9, v10
	v_addc_co_u32_e32 v9, vcc, v11, v12, vcc
	v_addc_co_u32_e32 v10, vcc, 0, v14, vcc
	v_add_co_u32_e32 v8, vcc, v9, v8
	v_addc_co_u32_e32 v9, vcc, 0, v10, vcc
	v_add_co_u32_e32 v4, vcc, v4, v8
	v_addc_co_u32_e32 v7, vcc, v7, v9, vcc
	v_mul_lo_u32 v8, s0, v7
	v_mul_hi_u32 v9, s0, v4
	v_mul_lo_u32 v10, s1, v4
	v_mul_lo_u32 v11, s0, v4
	v_add_u32_e32 v8, v9, v8
	v_add_u32_e32 v8, v8, v10
	v_mul_lo_u32 v12, v4, v8
	v_mul_hi_u32 v13, v4, v11
	v_mul_hi_u32 v14, v4, v8
	;; [unrolled: 1-line block ×3, first 2 shown]
	v_mul_lo_u32 v11, v7, v11
	v_mul_hi_u32 v9, v7, v8
	v_add_co_u32_e32 v12, vcc, v13, v12
	v_addc_co_u32_e32 v13, vcc, 0, v14, vcc
	v_mul_lo_u32 v8, v7, v8
	v_add_co_u32_e32 v11, vcc, v12, v11
	v_addc_co_u32_e32 v10, vcc, v13, v10, vcc
	v_addc_co_u32_e32 v9, vcc, 0, v9, vcc
	v_add_co_u32_e32 v8, vcc, v10, v8
	v_addc_co_u32_e32 v9, vcc, 0, v9, vcc
	v_add_co_u32_e32 v4, vcc, v4, v8
	v_addc_co_u32_e32 v9, vcc, v7, v9, vcc
	v_mad_u64_u32 v[7:8], s[0:1], v5, v9, 0
	v_mul_hi_u32 v10, v5, v4
	v_add_co_u32_e32 v11, vcc, v10, v7
	v_addc_co_u32_e32 v12, vcc, 0, v8, vcc
	v_mad_u64_u32 v[7:8], s[0:1], v6, v4, 0
	v_mad_u64_u32 v[9:10], s[0:1], v6, v9, 0
	v_add_co_u32_e32 v4, vcc, v11, v7
	v_addc_co_u32_e32 v4, vcc, v12, v8, vcc
	v_addc_co_u32_e32 v7, vcc, 0, v10, vcc
	v_add_co_u32_e32 v4, vcc, v4, v9
	v_addc_co_u32_e32 v9, vcc, 0, v7, vcc
	v_mul_lo_u32 v10, s19, v4
	v_mul_lo_u32 v11, s18, v9
	v_mad_u64_u32 v[7:8], s[0:1], s18, v4, 0
	v_add3_u32 v8, v8, v11, v10
	v_sub_u32_e32 v10, v6, v8
	v_mov_b32_e32 v11, s19
	v_sub_co_u32_e32 v7, vcc, v5, v7
	v_subb_co_u32_e64 v10, s[0:1], v10, v11, vcc
	v_subrev_co_u32_e64 v11, s[0:1], s18, v7
	v_subbrev_co_u32_e64 v10, s[0:1], 0, v10, s[0:1]
	v_cmp_le_u32_e64 s[0:1], s19, v10
	v_cndmask_b32_e64 v12, 0, -1, s[0:1]
	v_cmp_le_u32_e64 s[0:1], s18, v11
	v_cndmask_b32_e64 v11, 0, -1, s[0:1]
	v_cmp_eq_u32_e64 s[0:1], s19, v10
	v_cndmask_b32_e64 v10, v12, v11, s[0:1]
	v_add_co_u32_e64 v11, s[0:1], 2, v4
	v_addc_co_u32_e64 v12, s[0:1], 0, v9, s[0:1]
	v_add_co_u32_e64 v13, s[0:1], 1, v4
	v_addc_co_u32_e64 v14, s[0:1], 0, v9, s[0:1]
	v_subb_co_u32_e32 v8, vcc, v6, v8, vcc
	v_cmp_ne_u32_e64 s[0:1], 0, v10
	v_cmp_le_u32_e32 vcc, s19, v8
	v_cndmask_b32_e64 v10, v14, v12, s[0:1]
	v_cndmask_b32_e64 v12, 0, -1, vcc
	v_cmp_le_u32_e32 vcc, s18, v7
	v_cndmask_b32_e64 v7, 0, -1, vcc
	v_cmp_eq_u32_e32 vcc, s19, v8
	v_cndmask_b32_e32 v7, v12, v7, vcc
	v_cmp_ne_u32_e32 vcc, 0, v7
	v_cndmask_b32_e64 v7, v13, v11, s[0:1]
	v_cndmask_b32_e32 v8, v9, v10, vcc
	v_cndmask_b32_e32 v7, v4, v7, vcc
.LBB0_4:                                ;   in Loop: Header=BB0_2 Depth=1
	s_andn2_saveexec_b64 s[0:1], s[20:21]
	s_cbranch_execz .LBB0_6
; %bb.5:                                ;   in Loop: Header=BB0_2 Depth=1
	v_cvt_f32_u32_e32 v4, s18
	s_sub_i32 s20, 0, s18
	v_rcp_iflag_f32_e32 v4, v4
	v_mul_f32_e32 v4, 0x4f7ffffe, v4
	v_cvt_u32_f32_e32 v4, v4
	v_mul_lo_u32 v7, s20, v4
	v_mul_hi_u32 v7, v4, v7
	v_add_u32_e32 v4, v4, v7
	v_mul_hi_u32 v4, v5, v4
	v_mul_lo_u32 v7, v4, s18
	v_add_u32_e32 v8, 1, v4
	v_sub_u32_e32 v7, v5, v7
	v_subrev_u32_e32 v9, s18, v7
	v_cmp_le_u32_e32 vcc, s18, v7
	v_cndmask_b32_e32 v7, v7, v9, vcc
	v_cndmask_b32_e32 v4, v4, v8, vcc
	v_add_u32_e32 v8, 1, v4
	v_cmp_le_u32_e32 vcc, s18, v7
	v_cndmask_b32_e32 v7, v4, v8, vcc
	v_mov_b32_e32 v8, v3
.LBB0_6:                                ;   in Loop: Header=BB0_2 Depth=1
	s_or_b64 exec, exec, s[0:1]
	v_mul_lo_u32 v4, v8, s18
	v_mul_lo_u32 v11, v7, s19
	v_mad_u64_u32 v[9:10], s[0:1], v7, s18, 0
	s_load_dwordx2 s[0:1], s[6:7], 0x0
	s_add_u32 s16, s16, 1
	v_add3_u32 v4, v10, v11, v4
	v_sub_co_u32_e32 v5, vcc, v5, v9
	v_subb_co_u32_e32 v4, vcc, v6, v4, vcc
	s_waitcnt lgkmcnt(0)
	v_mul_lo_u32 v4, s0, v4
	v_mul_lo_u32 v6, s1, v5
	v_mad_u64_u32 v[1:2], s[0:1], s0, v5, v[1:2]
	s_addc_u32 s17, s17, 0
	s_add_u32 s6, s6, 8
	v_add3_u32 v2, v6, v2, v4
	v_mov_b32_e32 v4, s10
	v_mov_b32_e32 v5, s11
	s_addc_u32 s7, s7, 0
	v_cmp_ge_u64_e32 vcc, s[16:17], v[4:5]
	s_add_u32 s14, s14, 8
	s_addc_u32 s15, s15, 0
	s_cbranch_vccnz .LBB0_9
; %bb.7:                                ;   in Loop: Header=BB0_2 Depth=1
	v_mov_b32_e32 v5, v7
	v_mov_b32_e32 v6, v8
	s_branch .LBB0_2
.LBB0_8:
	v_mov_b32_e32 v8, v6
	v_mov_b32_e32 v7, v5
.LBB0_9:
	s_lshl_b64 s[0:1], s[10:11], 3
	s_add_u32 s0, s12, s0
	s_addc_u32 s1, s13, s1
	s_load_dwordx2 s[6:7], s[0:1], 0x0
	s_load_dwordx2 s[10:11], s[4:5], 0x20
	s_waitcnt lgkmcnt(0)
	v_mad_u64_u32 v[1:2], s[0:1], s6, v7, v[1:2]
	s_mov_b32 s0, 0x1745d18
	v_mul_lo_u32 v3, s6, v8
	v_mul_lo_u32 v4, s7, v7
	v_mul_hi_u32 v5, v0, s0
	v_cmp_gt_u64_e64 s[0:1], s[10:11], v[7:8]
	v_add3_u32 v2, v4, v2, v3
	v_mul_u32_u24_e32 v3, 0xb0, v5
	v_sub_u32_e32 v3, v0, v3
	v_lshlrev_b64 v[0:1], 2, v[1:2]
	v_mov_b32_e32 v4, 0
	v_mov_b32_e32 v2, v3
	s_and_saveexec_b64 s[4:5], s[0:1]
	s_cbranch_execz .LBB0_13
; %bb.10:
	v_mov_b32_e32 v2, s3
	v_add_co_u32_e32 v6, vcc, s2, v0
	v_lshlrev_b64 v[7:8], 2, v[3:4]
	v_addc_co_u32_e32 v2, vcc, v2, v1, vcc
	v_add_co_u32_e32 v7, vcc, v6, v7
	v_addc_co_u32_e32 v8, vcc, v2, v8, vcc
	v_add_co_u32_e32 v9, vcc, 0x1000, v7
	v_addc_co_u32_e32 v10, vcc, 0, v8, vcc
	global_load_dword v5, v[7:8], off
	global_load_dword v11, v[7:8], off offset:704
	global_load_dword v12, v[7:8], off offset:1408
	;; [unrolled: 1-line block ×7, first 2 shown]
	v_lshl_add_u32 v7, v3, 2, 0
	s_movk_i32 s6, 0xaf
	v_add_u32_e32 v8, 0x500, v7
	v_add_u32_e32 v9, 0xa00, v7
	;; [unrolled: 1-line block ×3, first 2 shown]
	v_cmp_eq_u32_e32 vcc, s6, v3
	s_waitcnt vmcnt(6)
	ds_write2_b32 v7, v5, v11 offset1:176
	s_waitcnt vmcnt(4)
	ds_write2_b32 v8, v12, v13 offset0:32 offset1:208
	s_waitcnt vmcnt(2)
	ds_write2_b32 v9, v14, v15 offset0:64 offset1:240
	s_waitcnt vmcnt(0)
	ds_write2_b32 v10, v16, v17 offset0:32 offset1:208
	v_mov_b32_e32 v5, v4
	v_mov_b32_e32 v4, v3
	s_and_saveexec_b64 s[6:7], vcc
	s_cbranch_execz .LBB0_12
; %bb.11:
	v_add_co_u32_e32 v3, vcc, 0x1000, v6
	v_addc_co_u32_e32 v4, vcc, 0, v2, vcc
	global_load_dword v2, v[3:4], off offset:1536
	v_mov_b32_e32 v3, 0
	v_mov_b32_e32 v4, 0xaf
	;; [unrolled: 1-line block ×3, first 2 shown]
	s_waitcnt vmcnt(0)
	ds_write_b32 v3, v2 offset:5632
	v_mov_b32_e32 v3, 0xaf
.LBB0_12:
	s_or_b64 exec, exec, s[6:7]
	v_mov_b32_e32 v2, v3
	v_mov_b32_e32 v3, v4
	;; [unrolled: 1-line block ×3, first 2 shown]
.LBB0_13:
	s_or_b64 exec, exec, s[4:5]
	v_lshlrev_b32_e32 v5, 2, v2
	v_add_u32_e32 v18, 0, v5
	s_waitcnt lgkmcnt(0)
	s_barrier
	v_sub_u32_e32 v12, 0, v5
	ds_read_u16 v6, v18
	ds_read_u16 v7, v12 offset:5632
	s_add_u32 s6, s8, 0x15f8
	v_lshlrev_b64 v[4:5], 2, v[3:4]
	s_addc_u32 s7, s9, 0
	v_cmp_ne_u32_e32 vcc, 0, v2
	s_waitcnt lgkmcnt(0)
	v_add_f16_e32 v8, v7, v6
	v_sub_f16_e32 v9, v6, v7
	s_and_saveexec_b64 s[4:5], vcc
	s_xor_b64 s[4:5], exec, s[4:5]
	s_cbranch_execz .LBB0_15
; %bb.14:
	v_mov_b32_e32 v3, s7
	v_add_co_u32_e32 v8, vcc, s6, v4
	v_addc_co_u32_e32 v9, vcc, v3, v5, vcc
	global_load_dword v3, v[8:9], off
	ds_read_u16 v8, v12 offset:5634
	ds_read_u16 v9, v18 offset:2
	v_add_f16_e32 v10, v7, v6
	v_sub_f16_e32 v6, v6, v7
	s_waitcnt lgkmcnt(0)
	v_add_f16_e32 v7, v8, v9
	v_sub_f16_e32 v8, v9, v8
	s_waitcnt vmcnt(0)
	v_lshrrev_b32_e32 v9, 16, v3
	v_fma_f16 v11, v6, v9, v10
	v_fma_f16 v13, v7, v9, v8
	v_fma_f16 v10, -v6, v9, v10
	v_fma_f16 v14, v7, v9, -v8
	v_fma_f16 v8, -v3, v7, v11
	v_fma_f16 v9, v6, v3, v13
	v_fma_f16 v7, v3, v7, v10
	v_fma_f16 v3, v6, v3, v14
	v_pack_b32_f16 v3, v7, v3
	ds_write_b32 v12, v3 offset:5632
.LBB0_15:
	s_andn2_saveexec_b64 s[4:5], s[4:5]
	s_cbranch_execz .LBB0_17
; %bb.16:
	v_mov_b32_e32 v3, 0
	ds_read_b32 v6, v3 offset:2816
	s_mov_b32 s10, 0xc0004000
	s_waitcnt lgkmcnt(0)
	v_pk_mul_f16 v6, v6, s10
	ds_write_b32 v3, v6 offset:2816
.LBB0_17:
	s_or_b64 exec, exec, s[4:5]
	v_mov_b32_e32 v3, 0
	v_lshlrev_b64 v[6:7], 2, v[2:3]
	v_mov_b32_e32 v3, s7
	v_add_co_u32_e32 v10, vcc, s6, v6
	v_addc_co_u32_e32 v11, vcc, v3, v7, vcc
	global_load_dword v13, v[10:11], off offset:704
	global_load_dword v14, v[10:11], off offset:1408
	;; [unrolled: 1-line block ×3, first 2 shown]
	s_mov_b32 s4, 0x5040100
	v_perm_b32 v3, v9, v8, s4
	ds_write_b32 v18, v3
	ds_read_b32 v11, v18 offset:704
	ds_read_b32 v16, v12 offset:4928
	v_add_u32_e32 v3, 0xa00, v18
	v_add_u32_e32 v8, 0x500, v18
	;; [unrolled: 1-line block ×4, first 2 shown]
	s_waitcnt lgkmcnt(0)
	v_add_f16_e32 v17, v11, v16
	v_add_f16_sdwa v19, v16, v11 dst_sel:DWORD dst_unused:UNUSED_PAD src0_sel:WORD_1 src1_sel:WORD_1
	v_sub_f16_e32 v20, v11, v16
	v_sub_f16_sdwa v11, v11, v16 dst_sel:DWORD dst_unused:UNUSED_PAD src0_sel:WORD_1 src1_sel:WORD_1
	v_lshl_add_u32 v21, v2, 2, v18
	v_add_u32_e32 v22, 0x160, v2
	s_movk_i32 s5, 0x1fc
	s_movk_i32 s6, 0x3fc
	;; [unrolled: 1-line block ×3, first 2 shown]
	s_mov_b32 s4, 0xffff
	s_movk_i32 s10, 0x80
	v_cmp_gt_u32_e32 vcc, s10, v2
	s_waitcnt vmcnt(2)
	v_lshrrev_b32_e32 v16, 16, v13
	v_fma_f16 v23, v20, v16, v17
	v_fma_f16 v24, v19, v16, v11
	v_fma_f16 v17, -v20, v16, v17
	v_fma_f16 v11, v19, v16, -v11
	v_fma_f16 v16, -v13, v19, v23
	v_fma_f16 v23, v20, v13, v24
	v_fma_f16 v17, v13, v19, v17
	;; [unrolled: 1-line block ×3, first 2 shown]
	v_pack_b32_f16 v13, v16, v23
	v_pack_b32_f16 v11, v17, v11
	ds_write_b32 v18, v13 offset:704
	ds_write_b32 v12, v11 offset:4928
	ds_read_b32 v13, v18 offset:1408
	ds_read_b32 v16, v12 offset:4224
	s_waitcnt vmcnt(1)
	v_lshrrev_b32_e32 v17, 16, v14
	v_and_b32_e32 v23, 1, v2
	v_add_u32_e32 v11, 0x210, v2
	v_lshlrev_b32_e32 v27, 2, v23
	s_waitcnt lgkmcnt(0)
	v_add_f16_e32 v19, v13, v16
	v_add_f16_sdwa v20, v16, v13 dst_sel:DWORD dst_unused:UNUSED_PAD src0_sel:WORD_1 src1_sel:WORD_1
	v_sub_f16_e32 v25, v13, v16
	v_sub_f16_sdwa v13, v13, v16 dst_sel:DWORD dst_unused:UNUSED_PAD src0_sel:WORD_1 src1_sel:WORD_1
	v_fma_f16 v16, v25, v17, v19
	v_fma_f16 v26, v20, v17, v13
	v_fma_f16 v19, -v25, v17, v19
	v_fma_f16 v13, v20, v17, -v13
	v_fma_f16 v16, -v14, v20, v16
	v_fma_f16 v17, v25, v14, v26
	v_fma_f16 v19, v14, v20, v19
	;; [unrolled: 1-line block ×3, first 2 shown]
	v_pack_b32_f16 v14, v16, v17
	v_pack_b32_f16 v13, v19, v13
	ds_write_b32 v18, v14 offset:1408
	ds_write_b32 v12, v13 offset:4224
	ds_read_b32 v13, v18 offset:2112
	ds_read_b32 v14, v12 offset:3520
	s_waitcnt vmcnt(0)
	v_lshrrev_b32_e32 v16, 16, v15
	v_lshl_add_u32 v24, v10, 3, 0
	v_lshl_add_u32 v25, v22, 3, 0
	;; [unrolled: 1-line block ×3, first 2 shown]
	s_waitcnt lgkmcnt(0)
	v_add_f16_e32 v17, v13, v14
	v_add_f16_sdwa v19, v14, v13 dst_sel:DWORD dst_unused:UNUSED_PAD src0_sel:WORD_1 src1_sel:WORD_1
	v_sub_f16_e32 v20, v13, v14
	v_sub_f16_sdwa v13, v13, v14 dst_sel:DWORD dst_unused:UNUSED_PAD src0_sel:WORD_1 src1_sel:WORD_1
	v_fma_f16 v14, v20, v16, v17
	v_fma_f16 v28, v19, v16, v13
	v_fma_f16 v17, -v20, v16, v17
	v_fma_f16 v13, v19, v16, -v13
	v_fma_f16 v14, -v15, v19, v14
	v_fma_f16 v16, v20, v15, v28
	v_fma_f16 v17, v15, v19, v17
	v_fma_f16 v13, v20, v15, v13
	v_pack_b32_f16 v14, v14, v16
	v_pack_b32_f16 v13, v17, v13
	ds_write_b32 v18, v14 offset:2112
	ds_write_b32 v12, v13 offset:3520
	s_waitcnt lgkmcnt(0)
	s_barrier
	s_barrier
	ds_read2_b32 v[12:13], v18 offset1:176
	ds_read2_b32 v[14:15], v3 offset0:64 offset1:240
	ds_read2_b32 v[16:17], v8 offset0:32 offset1:208
	;; [unrolled: 1-line block ×3, first 2 shown]
	s_waitcnt lgkmcnt(0)
	s_barrier
	v_pk_add_f16 v14, v12, v14 neg_lo:[0,1] neg_hi:[0,1]
	v_pk_add_f16 v15, v13, v15 neg_lo:[0,1] neg_hi:[0,1]
	;; [unrolled: 1-line block ×4, first 2 shown]
	v_pk_fma_f16 v12, v12, 2.0, v14 op_sel_hi:[1,0,1] neg_lo:[0,0,1] neg_hi:[0,0,1]
	v_pk_fma_f16 v17, v17, 2.0, v20 op_sel_hi:[1,0,1] neg_lo:[0,0,1] neg_hi:[0,0,1]
	;; [unrolled: 1-line block ×4, first 2 shown]
	ds_write2_b32 v21, v12, v14 offset1:1
	ds_write2_b32 v24, v13, v15 offset1:1
	;; [unrolled: 1-line block ×4, first 2 shown]
	s_waitcnt lgkmcnt(0)
	s_barrier
	global_load_dword v17, v27, s[8:9]
	v_lshlrev_b32_e32 v12, 1, v2
	v_and_or_b32 v13, v12, s5, v23
	v_lshlrev_b32_e32 v25, 1, v10
	v_lshlrev_b32_e32 v26, 1, v22
	;; [unrolled: 1-line block ×3, first 2 shown]
	v_lshl_add_u32 v29, v13, 2, 0
	v_and_or_b32 v13, v25, s6, v23
	v_and_or_b32 v14, v26, s7, v23
	v_and_or_b32 v15, v27, s7, v23
	v_lshl_add_u32 v23, v13, 2, 0
	v_lshl_add_u32 v30, v14, 2, 0
	v_lshl_add_u32 v31, v15, 2, 0
	ds_read2_b32 v[13:14], v9 offset0:32 offset1:208
	ds_read2_b32 v[15:16], v3 offset0:64 offset1:240
	ds_read2_b32 v[19:20], v18 offset1:176
	ds_read2_b32 v[21:22], v8 offset0:32 offset1:208
	v_and_b32_e32 v24, 3, v2
	v_lshlrev_b32_e32 v28, 2, v24
	s_waitcnt vmcnt(0) lgkmcnt(0)
	s_barrier
	s_movk_i32 s5, 0x1f8
	s_movk_i32 s6, 0x3f8
	s_movk_i32 s7, 0x7f8
	v_pk_mul_f16 v32, v17, v14 op_sel:[0,1]
	v_pk_mul_f16 v33, v17, v13 op_sel:[0,1]
	v_pk_mul_f16 v34, v17, v16 op_sel:[0,1]
	v_pk_mul_f16 v35, v17, v15 op_sel:[0,1]
	v_pk_fma_f16 v36, v17, v14, v32 op_sel:[0,0,1] op_sel_hi:[1,1,0] neg_lo:[0,0,1] neg_hi:[0,0,1]
	v_pk_fma_f16 v14, v17, v14, v32 op_sel:[0,0,1] op_sel_hi:[1,0,0]
	v_pk_fma_f16 v32, v17, v13, v33 op_sel:[0,0,1] op_sel_hi:[1,1,0] neg_lo:[0,0,1] neg_hi:[0,0,1]
	v_pk_fma_f16 v13, v17, v13, v33 op_sel:[0,0,1] op_sel_hi:[1,0,0]
	v_pk_fma_f16 v33, v17, v16, v34 op_sel:[0,0,1] op_sel_hi:[1,1,0] neg_lo:[0,0,1] neg_hi:[0,0,1]
	v_pk_fma_f16 v16, v17, v16, v34 op_sel:[0,0,1] op_sel_hi:[1,0,0]
	v_pk_fma_f16 v34, v17, v15, v35 op_sel:[0,0,1] op_sel_hi:[1,1,0] neg_lo:[0,0,1] neg_hi:[0,0,1]
	v_pk_fma_f16 v15, v17, v15, v35 op_sel:[0,0,1] op_sel_hi:[1,0,0]
	v_bfi_b32 v15, s4, v34, v15
	v_bfi_b32 v16, s4, v33, v16
	v_bfi_b32 v13, s4, v32, v13
	v_bfi_b32 v14, s4, v36, v14
	v_pk_add_f16 v15, v19, v15 neg_lo:[0,1] neg_hi:[0,1]
	v_pk_add_f16 v16, v20, v16 neg_lo:[0,1] neg_hi:[0,1]
	v_pk_add_f16 v13, v21, v13 neg_lo:[0,1] neg_hi:[0,1]
	v_pk_add_f16 v14, v22, v14 neg_lo:[0,1] neg_hi:[0,1]
	v_pk_fma_f16 v17, v19, 2.0, v15 op_sel_hi:[1,0,1] neg_lo:[0,0,1] neg_hi:[0,0,1]
	v_pk_fma_f16 v19, v20, 2.0, v16 op_sel_hi:[1,0,1] neg_lo:[0,0,1] neg_hi:[0,0,1]
	v_pk_fma_f16 v20, v21, 2.0, v13 op_sel_hi:[1,0,1] neg_lo:[0,0,1] neg_hi:[0,0,1]
	v_pk_fma_f16 v21, v22, 2.0, v14 op_sel_hi:[1,0,1] neg_lo:[0,0,1] neg_hi:[0,0,1]
	ds_write2_b32 v29, v17, v15 offset1:2
	ds_write2_b32 v23, v19, v16 offset1:2
	ds_write2_b32 v30, v20, v13 offset1:2
	ds_write2_b32 v31, v21, v14 offset1:2
	s_waitcnt lgkmcnt(0)
	s_barrier
	global_load_dword v17, v28, s[8:9] offset:8
	v_and_or_b32 v13, v12, s5, v24
	v_lshl_add_u32 v29, v13, 2, 0
	v_and_or_b32 v13, v25, s6, v24
	v_and_or_b32 v14, v26, s7, v24
	v_and_or_b32 v15, v27, s7, v24
	v_lshl_add_u32 v24, v13, 2, 0
	v_lshl_add_u32 v30, v14, 2, 0
	v_lshl_add_u32 v31, v15, 2, 0
	ds_read2_b32 v[13:14], v9 offset0:32 offset1:208
	ds_read2_b32 v[15:16], v3 offset0:64 offset1:240
	ds_read2_b32 v[19:20], v18 offset1:176
	ds_read2_b32 v[21:22], v8 offset0:32 offset1:208
	v_and_b32_e32 v23, 7, v2
	v_lshlrev_b32_e32 v28, 2, v23
	s_waitcnt vmcnt(0) lgkmcnt(0)
	s_barrier
	s_movk_i32 s5, 0x1f0
	s_movk_i32 s6, 0x3f0
	s_movk_i32 s7, 0x7f0
	v_pk_mul_f16 v32, v17, v14 op_sel:[0,1]
	v_pk_mul_f16 v33, v17, v13 op_sel:[0,1]
	v_pk_mul_f16 v34, v17, v16 op_sel:[0,1]
	v_pk_mul_f16 v35, v17, v15 op_sel:[0,1]
	v_pk_fma_f16 v36, v17, v14, v32 op_sel:[0,0,1] op_sel_hi:[1,1,0] neg_lo:[0,0,1] neg_hi:[0,0,1]
	v_pk_fma_f16 v14, v17, v14, v32 op_sel:[0,0,1] op_sel_hi:[1,0,0]
	v_pk_fma_f16 v32, v17, v13, v33 op_sel:[0,0,1] op_sel_hi:[1,1,0] neg_lo:[0,0,1] neg_hi:[0,0,1]
	v_pk_fma_f16 v13, v17, v13, v33 op_sel:[0,0,1] op_sel_hi:[1,0,0]
	v_pk_fma_f16 v33, v17, v16, v34 op_sel:[0,0,1] op_sel_hi:[1,1,0] neg_lo:[0,0,1] neg_hi:[0,0,1]
	v_pk_fma_f16 v16, v17, v16, v34 op_sel:[0,0,1] op_sel_hi:[1,0,0]
	v_pk_fma_f16 v34, v17, v15, v35 op_sel:[0,0,1] op_sel_hi:[1,1,0] neg_lo:[0,0,1] neg_hi:[0,0,1]
	v_pk_fma_f16 v15, v17, v15, v35 op_sel:[0,0,1] op_sel_hi:[1,0,0]
	v_bfi_b32 v15, s4, v34, v15
	v_bfi_b32 v16, s4, v33, v16
	v_bfi_b32 v13, s4, v32, v13
	v_bfi_b32 v14, s4, v36, v14
	v_pk_add_f16 v15, v19, v15 neg_lo:[0,1] neg_hi:[0,1]
	v_pk_add_f16 v16, v20, v16 neg_lo:[0,1] neg_hi:[0,1]
	v_pk_add_f16 v13, v21, v13 neg_lo:[0,1] neg_hi:[0,1]
	v_pk_add_f16 v14, v22, v14 neg_lo:[0,1] neg_hi:[0,1]
	v_pk_fma_f16 v17, v19, 2.0, v15 op_sel_hi:[1,0,1] neg_lo:[0,0,1] neg_hi:[0,0,1]
	v_pk_fma_f16 v19, v20, 2.0, v16 op_sel_hi:[1,0,1] neg_lo:[0,0,1] neg_hi:[0,0,1]
	v_pk_fma_f16 v20, v21, 2.0, v13 op_sel_hi:[1,0,1] neg_lo:[0,0,1] neg_hi:[0,0,1]
	v_pk_fma_f16 v21, v22, 2.0, v14 op_sel_hi:[1,0,1] neg_lo:[0,0,1] neg_hi:[0,0,1]
	ds_write2_b32 v29, v17, v15 offset1:4
	ds_write2_b32 v24, v19, v16 offset1:4
	ds_write2_b32 v30, v20, v13 offset1:4
	ds_write2_b32 v31, v21, v14 offset1:4
	s_waitcnt lgkmcnt(0)
	s_barrier
	global_load_dword v17, v28, s[8:9] offset:24
	v_and_or_b32 v13, v12, s5, v23
	;; [unrolled: 50-line block ×3, first 2 shown]
	v_and_b32_e32 v22, 31, v11
	v_and_b32_e32 v23, 31, v10
	v_lshl_add_u32 v29, v13, 2, 0
	v_and_or_b32 v10, v25, s6, v24
	v_and_or_b32 v11, v26, s7, v24
	v_and_or_b32 v13, v27, s7, v24
	v_lshl_add_u32 v31, v10, 2, 0
	v_lshl_add_u32 v32, v11, 2, 0
	;; [unrolled: 1-line block ×3, first 2 shown]
	ds_read2_b32 v[10:11], v9 offset0:32 offset1:208
	ds_read2_b32 v[13:14], v3 offset0:64 offset1:240
	ds_read2_b32 v[15:16], v18 offset1:176
	ds_read2_b32 v[19:20], v8 offset0:32 offset1:208
	v_and_b32_e32 v21, 31, v2
	v_lshlrev_b32_e32 v24, 2, v22
	v_lshlrev_b32_e32 v28, 2, v21
	;; [unrolled: 1-line block ×3, first 2 shown]
	s_waitcnt vmcnt(0) lgkmcnt(0)
	s_barrier
	s_movk_i32 s6, 0x1c0
	s_movk_i32 s5, 0x3c0
	s_movk_i32 s7, 0x7c0
	v_pk_mul_f16 v34, v17, v11 op_sel:[0,1]
	v_pk_mul_f16 v35, v17, v10 op_sel:[0,1]
	;; [unrolled: 1-line block ×4, first 2 shown]
	v_pk_fma_f16 v38, v17, v11, v34 op_sel:[0,0,1] op_sel_hi:[1,1,0] neg_lo:[0,0,1] neg_hi:[0,0,1]
	v_pk_fma_f16 v11, v17, v11, v34 op_sel:[0,0,1] op_sel_hi:[1,0,0]
	v_pk_fma_f16 v34, v17, v10, v35 op_sel:[0,0,1] op_sel_hi:[1,1,0] neg_lo:[0,0,1] neg_hi:[0,0,1]
	v_pk_fma_f16 v10, v17, v10, v35 op_sel:[0,0,1] op_sel_hi:[1,0,0]
	;; [unrolled: 2-line block ×4, first 2 shown]
	v_bfi_b32 v13, s4, v36, v13
	v_bfi_b32 v14, s4, v35, v14
	;; [unrolled: 1-line block ×4, first 2 shown]
	v_pk_add_f16 v13, v15, v13 neg_lo:[0,1] neg_hi:[0,1]
	v_pk_add_f16 v14, v16, v14 neg_lo:[0,1] neg_hi:[0,1]
	;; [unrolled: 1-line block ×4, first 2 shown]
	v_pk_fma_f16 v15, v15, 2.0, v13 op_sel_hi:[1,0,1] neg_lo:[0,0,1] neg_hi:[0,0,1]
	v_pk_fma_f16 v16, v16, 2.0, v14 op_sel_hi:[1,0,1] neg_lo:[0,0,1] neg_hi:[0,0,1]
	;; [unrolled: 1-line block ×4, first 2 shown]
	ds_write2_b32 v29, v15, v13 offset1:16
	ds_write2_b32 v31, v16, v14 offset1:16
	;; [unrolled: 1-line block ×4, first 2 shown]
	s_waitcnt lgkmcnt(0)
	s_barrier
	global_load_dword v13, v24, s[8:9] offset:120
	global_load_dword v14, v28, s[8:9] offset:120
	;; [unrolled: 1-line block ×3, first 2 shown]
	v_and_or_b32 v10, v12, s6, v21
	v_and_or_b32 v11, v25, s5, v23
	v_lshl_add_u32 v23, v10, 2, 0
	v_and_or_b32 v10, v26, s7, v21
	v_and_or_b32 v12, v27, s7, v22
	v_lshl_add_u32 v21, v11, 2, 0
	v_lshl_add_u32 v25, v10, 2, 0
	;; [unrolled: 1-line block ×3, first 2 shown]
	ds_read2_b32 v[9:10], v9 offset0:32 offset1:208
	ds_read2_b32 v[11:12], v3 offset0:64 offset1:240
	ds_read2_b32 v[16:17], v18 offset1:176
	ds_read2_b32 v[19:20], v8 offset0:32 offset1:208
	s_waitcnt vmcnt(0) lgkmcnt(0)
	s_barrier
	v_pk_mul_f16 v3, v13, v10 op_sel:[0,1]
	v_pk_mul_f16 v8, v14, v9 op_sel:[0,1]
	;; [unrolled: 1-line block ×4, first 2 shown]
	v_pk_fma_f16 v26, v13, v10, v3 op_sel:[0,0,1] op_sel_hi:[1,1,0] neg_lo:[0,0,1] neg_hi:[0,0,1]
	v_pk_fma_f16 v3, v13, v10, v3 op_sel:[0,0,1] op_sel_hi:[1,0,0]
	v_pk_fma_f16 v10, v14, v9, v8 op_sel:[0,0,1] op_sel_hi:[1,1,0] neg_lo:[0,0,1] neg_hi:[0,0,1]
	v_pk_fma_f16 v8, v14, v9, v8 op_sel:[0,0,1] op_sel_hi:[1,0,0]
	;; [unrolled: 2-line block ×4, first 2 shown]
	v_bfi_b32 v3, s4, v26, v3
	v_bfi_b32 v8, s4, v10, v8
	;; [unrolled: 1-line block ×4, first 2 shown]
	v_pk_add_f16 v15, v20, v3 neg_lo:[0,1] neg_hi:[0,1]
	v_pk_add_f16 v11, v19, v8 neg_lo:[0,1] neg_hi:[0,1]
	;; [unrolled: 1-line block ×4, first 2 shown]
	v_pk_fma_f16 v14, v20, 2.0, v15 op_sel_hi:[1,0,1] neg_lo:[0,0,1] neg_hi:[0,0,1]
	v_pk_fma_f16 v10, v19, 2.0, v11 op_sel_hi:[1,0,1] neg_lo:[0,0,1] neg_hi:[0,0,1]
	;; [unrolled: 1-line block ×4, first 2 shown]
	v_lshrrev_b32_e32 v24, 16, v15
	v_lshrrev_b32_e32 v22, 16, v11
	;; [unrolled: 1-line block ×3, first 2 shown]
	ds_write2_b32 v23, v8, v9 offset1:32
	ds_write2_b32 v21, v12, v13 offset1:32
	;; [unrolled: 1-line block ×4, first 2 shown]
	v_lshrrev_b32_e32 v28, 16, v14
	v_lshrrev_b32_e32 v30, 16, v10
	v_lshrrev_b32_e32 v29, 16, v12
	v_lshrrev_b32_e32 v3, 16, v8
	v_lshrrev_b32_e32 v27, 16, v9
	s_waitcnt lgkmcnt(0)
	s_barrier
	s_waitcnt lgkmcnt(0)
                                        ; implicit-def: $vgpr23
                                        ; implicit-def: $vgpr20
                                        ; implicit-def: $vgpr21
                                        ; implicit-def: $vgpr25
                                        ; implicit-def: $vgpr17
	s_and_saveexec_b64 s[4:5], vcc
	s_cbranch_execz .LBB0_19
; %bb.18:
	ds_read2st64_b32 v[8:9], v18 offset1:2
	ds_read2st64_b32 v[12:13], v18 offset0:4 offset1:6
	ds_read2st64_b32 v[16:17], v18 offset0:16 offset1:18
	;; [unrolled: 1-line block ×3, first 2 shown]
	ds_read_b32 v20, v18 offset:5120
	ds_read2st64_b32 v[14:15], v18 offset0:12 offset1:14
	s_waitcnt lgkmcnt(5)
	v_lshrrev_b32_e32 v3, 16, v8
	s_waitcnt lgkmcnt(3)
	v_lshrrev_b32_e32 v25, 16, v16
	v_lshrrev_b32_e32 v21, 16, v17
	s_waitcnt lgkmcnt(1)
	v_lshrrev_b32_e32 v23, 16, v20
	v_lshrrev_b32_e32 v27, 16, v9
	;; [unrolled: 1-line block ×6, first 2 shown]
	s_waitcnt lgkmcnt(0)
	v_lshrrev_b32_e32 v28, 16, v14
	v_lshrrev_b32_e32 v24, 16, v15
.LBB0_19:
	s_or_b64 exec, exec, s[4:5]
	s_barrier
	s_and_saveexec_b64 s[4:5], vcc
	s_cbranch_execz .LBB0_21
; %bb.20:
	v_and_b32_e32 v19, 63, v2
	v_mul_u32_u24_e32 v31, 10, v19
	v_lshlrev_b32_e32 v41, 2, v31
	global_load_dwordx4 v[31:34], v41, s[8:9] offset:248
	global_load_dwordx4 v[35:38], v41, s[8:9] offset:264
	global_load_dwordx2 v[39:40], v41, s[8:9] offset:280
	s_mov_b32 s6, 0xb93d
	s_mov_b32 s10, 0xb08e
	s_movk_i32 s12, 0x3abb
	s_mov_b32 s7, 0xbbad
	s_movk_i32 s11, 0x36a6
	s_movk_i32 s13, 0x3a0c
	s_mov_b32 s14, 0xbbeb
	s_movk_i32 s15, 0x3853
	s_movk_i32 s16, 0x3482
	s_mov_b32 s17, 0xbb47
	s_mov_b32 s18, 0xb853
	s_waitcnt vmcnt(2)
	v_mul_f16_sdwa v45, v9, v31 dst_sel:DWORD dst_unused:UNUSED_PAD src0_sel:DWORD src1_sel:WORD_1
	v_mul_f16_sdwa v43, v12, v32 dst_sel:DWORD dst_unused:UNUSED_PAD src0_sel:DWORD src1_sel:WORD_1
	s_waitcnt vmcnt(0)
	v_mul_f16_sdwa v59, v20, v40 dst_sel:DWORD dst_unused:UNUSED_PAD src0_sel:DWORD src1_sel:WORD_1
	v_mul_f16_sdwa v46, v27, v31 dst_sel:DWORD dst_unused:UNUSED_PAD src0_sel:DWORD src1_sel:WORD_1
	;; [unrolled: 1-line block ×6, first 2 shown]
	v_fma_f16 v27, v27, v31, v45
	v_fma_f16 v23, v23, v40, v59
	v_mul_f16_sdwa v41, v29, v32 dst_sel:DWORD dst_unused:UNUSED_PAD src0_sel:DWORD src1_sel:WORD_1
	v_mul_f16_sdwa v42, v26, v33 dst_sel:DWORD dst_unused:UNUSED_PAD src0_sel:DWORD src1_sel:WORD_1
	;; [unrolled: 1-line block ×10, first 2 shown]
	v_fma_f16 v29, v29, v32, v43
	v_fma_f16 v30, v30, v34, v47
	v_fma_f16 v9, v9, v31, -v46
	v_fma_f16 v10, v10, v34, -v48
	;; [unrolled: 1-line block ×3, first 2 shown]
	v_fma_f16 v21, v21, v39, v58
	v_sub_f16_e32 v31, v27, v23
	v_add_f16_e32 v34, v27, v23
	v_mul_f16_sdwa v50, v28, v36 dst_sel:DWORD dst_unused:UNUSED_PAD src0_sel:DWORD src1_sel:WORD_1
	v_mul_f16_sdwa v52, v14, v36 dst_sel:DWORD dst_unused:UNUSED_PAD src0_sel:DWORD src1_sel:WORD_1
	v_fma_f16 v12, v12, v32, -v41
	v_fma_f16 v13, v13, v33, -v42
	v_fma_f16 v26, v26, v33, v44
	v_fma_f16 v15, v15, v37, -v49
	v_fma_f16 v11, v11, v35, -v53
	v_fma_f16 v24, v24, v37, v51
	v_fma_f16 v22, v22, v35, v54
	v_fma_f16 v25, v25, v38, v55
	v_fma_f16 v16, v16, v38, -v56
	v_fma_f16 v17, v17, v39, -v57
	v_add_f16_e32 v32, v9, v20
	v_add_f16_e32 v33, v8, v9
	v_sub_f16_e32 v9, v9, v20
	v_add_f16_e32 v35, v29, v21
	v_mul_f16_e32 v37, 0xba0c, v31
	v_mul_f16_e32 v38, 0xb482, v31
	;; [unrolled: 1-line block ×6, first 2 shown]
	v_fma_f16 v14, v14, v36, -v50
	v_fma_f16 v28, v28, v36, v52
	v_sub_f16_e32 v36, v12, v17
	v_mul_f16_e32 v42, 0xb08e, v35
	v_fma_f16 v43, v32, s7, v38
	v_fma_f16 v38, v32, s7, -v38
	v_fma_f16 v44, v32, s6, v37
	v_fma_f16 v37, v32, s6, -v37
	v_fma_f16 v45, v32, s10, -v39
	v_fma_f16 v39, v32, s10, v39
	v_fma_f16 v46, v32, s11, -v40
	v_fma_f16 v40, v32, s11, v40
	;; [unrolled: 2-line block ×3, first 2 shown]
	v_fma_f16 v32, v9, s13, v41
	v_add_f16_e32 v44, v8, v44
	v_add_f16_e32 v43, v8, v43
	;; [unrolled: 1-line block ×11, first 2 shown]
	v_fma_f16 v32, v36, s14, v42
	v_add_f16_e32 v31, v32, v31
	v_add_f16_e32 v32, v26, v25
	v_mul_f16_e32 v48, 0x3abb, v32
	v_sub_f16_e32 v49, v13, v16
	v_fma_f16 v50, v49, s15, v48
	v_add_f16_e32 v31, v50, v31
	v_add_f16_e32 v50, v30, v24
	v_mul_f16_e32 v51, 0xbbad, v50
	v_sub_f16_e32 v52, v10, v15
	;; [unrolled: 5-line block ×3, first 2 shown]
	v_fma_f16 v56, v55, s17, v54
	v_sub_f16_e32 v57, v29, v21
	v_add_f16_e32 v31, v56, v31
	v_add_f16_e32 v56, v12, v17
	v_mul_f16_e32 v58, 0x3beb, v57
	v_fma_f16 v59, v56, s10, v58
	v_sub_f16_e32 v60, v26, v25
	v_add_f16_e32 v44, v59, v44
	v_add_f16_e32 v59, v13, v16
	v_mul_f16_e32 v61, 0xb853, v60
	;; [unrolled: 5-line block ×4, first 2 shown]
	v_fma_f16 v68, v65, s11, v67
	v_add_f16_e32 v44, v68, v44
	v_mul_f16_e32 v68, 0xbbad, v34
	v_fma_f16 v69, v9, s16, v68
	v_mul_f16_e32 v70, 0x3abb, v35
	v_add_f16_e32 v69, v3, v69
	v_fma_f16 v71, v36, s18, v70
	v_add_f16_e32 v69, v71, v69
	v_mul_f16_e32 v71, 0xb93d, v32
	v_fma_f16 v70, v36, s15, v70
	s_mov_b32 s15, 0xba0c
	v_fma_f16 v72, v49, s13, v71
	s_movk_i32 s13, 0x3beb
	v_fma_f16 v41, v9, s15, v41
	v_add_f16_e32 v41, v3, v41
	v_fma_f16 v42, v36, s13, v42
	v_add_f16_e32 v69, v72, v69
	v_mul_f16_e32 v72, 0x36a6, v50
	s_mov_b32 s16, 0xb482
	v_add_f16_e32 v41, v42, v41
	v_fma_f16 v42, v49, s18, v48
	v_fma_f16 v73, v52, s17, v72
	s_movk_i32 s17, 0x3b47
	v_add_f16_e32 v41, v42, v41
	v_fma_f16 v42, v52, s16, v51
	v_add_f16_e32 v41, v42, v41
	v_fma_f16 v42, v55, s17, v54
	v_add_f16_e32 v41, v42, v41
	v_fma_f16 v42, v56, s10, -v58
	v_add_f16_e32 v37, v42, v37
	v_fma_f16 v42, v59, s12, -v61
	;; [unrolled: 2-line block ×4, first 2 shown]
	v_add_f16_e32 v37, v42, v37
	v_mul_f16_e32 v42, 0xbbeb, v9
	v_fma_f16 v48, v34, s10, v42
	v_mul_f16_e32 v51, 0x3482, v36
	v_add_f16_e32 v69, v73, v69
	v_mul_f16_e32 v73, 0xb08e, v53
	v_add_f16_e32 v48, v3, v48
	v_fma_f16 v54, v35, s7, v51
	v_fma_f16 v74, v55, s13, v73
	v_fma_f16 v68, v9, s16, v68
	v_add_f16_e32 v48, v54, v48
	v_mul_f16_e32 v54, 0x3b47, v49
	v_add_f16_e32 v69, v74, v69
	v_mul_f16_e32 v74, 0x3853, v57
	v_add_f16_e32 v68, v3, v68
	v_fma_f16 v58, v32, s11, v54
	v_fma_f16 v75, v56, s12, v74
	v_add_f16_e32 v68, v70, v68
	v_fma_f16 v70, v49, s15, v71
	v_add_f16_e32 v48, v58, v48
	v_mul_f16_e32 v58, 0xb853, v52
	v_add_f16_e32 v43, v75, v43
	v_mul_f16_e32 v75, 0xba0c, v60
	v_add_f16_e32 v68, v70, v68
	v_fma_f16 v70, v52, s17, v72
	v_fma_f16 v61, v50, s12, v58
	;; [unrolled: 1-line block ×3, first 2 shown]
	v_add_f16_e32 v68, v70, v68
	v_fma_f16 v70, v55, s14, v73
	v_add_f16_e32 v48, v61, v48
	v_mul_f16_e32 v61, 0xba0c, v55
	v_add_f16_e32 v43, v76, v43
	v_mul_f16_e32 v76, 0x3b47, v63
	v_add_f16_e32 v68, v70, v68
	v_fma_f16 v70, v56, s12, -v74
	v_fma_f16 v64, v53, s6, v61
	v_fma_f16 v77, v62, s11, v76
	v_add_f16_e32 v38, v70, v38
	v_fma_f16 v70, v59, s6, -v75
	v_add_f16_e32 v48, v64, v48
	v_mul_f16_e32 v64, 0x3482, v57
	v_add_f16_e32 v43, v77, v43
	v_mul_f16_e32 v77, 0xbbeb, v66
	v_add_f16_e32 v38, v70, v38
	v_fma_f16 v70, v62, s11, -v76
	v_fma_f16 v67, v56, s7, -v64
	v_add_f16_e32 v38, v70, v38
	v_fma_f16 v70, v65, s10, -v77
	v_add_f16_e32 v45, v67, v45
	v_mul_f16_e32 v67, 0x3b47, v60
	v_add_f16_e32 v38, v70, v38
	v_fma_f16 v70, v59, s11, -v67
	v_add_f16_e32 v45, v70, v45
	v_mul_f16_e32 v70, 0xb853, v63
	v_fma_f16 v71, v62, s12, -v70
	v_add_f16_e32 v45, v71, v45
	v_mul_f16_e32 v71, 0xba0c, v66
	;; [unrolled: 3-line block ×3, first 2 shown]
	v_fma_f16 v73, v34, s11, v72
	v_mul_f16_e32 v74, 0xba0c, v36
	v_add_f16_e32 v73, v3, v73
	v_fma_f16 v75, v35, s6, v74
	v_add_f16_e32 v73, v75, v73
	v_mul_f16_e32 v75, 0x3482, v49
	v_fma_f16 v76, v32, s7, v75
	v_add_f16_e32 v73, v76, v73
	v_mul_f16_e32 v76, 0x3beb, v52
	v_fma_f16 v78, v65, s10, v77
	v_fma_f16 v77, v50, s10, v76
	v_add_f16_e32 v12, v33, v12
	v_add_f16_e32 v73, v77, v73
	v_mul_f16_e32 v77, 0x3853, v55
	v_add_f16_e32 v12, v12, v13
	v_add_f16_e32 v43, v78, v43
	v_fma_f16 v78, v53, s12, v77
	v_add_f16_e32 v10, v12, v10
	v_fma_f16 v12, v34, s10, -v42
	v_add_f16_e32 v73, v78, v73
	v_mul_f16_e32 v78, 0xba0c, v57
	v_add_f16_e32 v12, v3, v12
	v_fma_f16 v13, v35, s7, -v51
	v_fma_f16 v79, v56, s6, -v78
	v_add_f16_e32 v12, v13, v12
	v_fma_f16 v13, v32, s11, -v54
	v_add_f16_e32 v46, v79, v46
	v_mul_f16_e32 v79, 0x3482, v60
	v_add_f16_e32 v12, v13, v12
	v_fma_f16 v13, v50, s12, -v58
	v_fma_f16 v80, v59, s7, -v79
	v_add_f16_e32 v12, v13, v12
	v_fma_f16 v13, v53, s6, -v61
	v_add_f16_e32 v46, v80, v46
	v_mul_f16_e32 v80, 0x3beb, v63
	v_add_f16_e32 v10, v10, v11
	v_add_f16_e32 v12, v13, v12
	v_fma_f16 v13, v56, s7, v64
	v_fma_f16 v81, v62, s10, -v80
	v_add_f16_e32 v10, v10, v14
	v_add_f16_e32 v13, v13, v39
	v_fma_f16 v14, v59, s11, v67
	v_add_f16_e32 v46, v81, v46
	v_mul_f16_e32 v81, 0x3853, v66
	v_add_f16_e32 v13, v14, v13
	v_fma_f16 v14, v62, s12, v70
	v_fma_f16 v82, v65, s12, -v81
	v_mul_f16_e32 v9, 0xb853, v9
	v_add_f16_e32 v13, v14, v13
	v_fma_f16 v14, v65, s6, v71
	v_add_f16_e32 v46, v82, v46
	v_fma_f16 v82, v34, s12, v9
	v_mul_f16_e32 v36, 0xbb47, v36
	v_add_f16_e32 v13, v14, v13
	v_fma_f16 v14, v34, s11, -v72
	v_fma_f16 v9, v34, s12, -v9
	v_add_f16_e32 v82, v3, v82
	v_mul_f16_e32 v49, 0xbbeb, v49
	v_add_f16_e32 v11, v3, v27
	v_add_f16_e32 v14, v3, v14
	;; [unrolled: 1-line block ×3, first 2 shown]
	v_fma_f16 v9, v35, s11, -v36
	v_mul_f16_e32 v52, 0xba0c, v52
	v_add_f16_e32 v3, v9, v3
	v_fma_f16 v9, v32, s10, -v49
	v_fma_f16 v83, v35, s11, v36
	v_mul_f16_e32 v55, 0xb482, v55
	v_add_f16_e32 v11, v11, v29
	v_add_f16_e32 v3, v9, v3
	v_fma_f16 v9, v50, s6, -v52
	v_add_f16_e32 v82, v83, v82
	v_fma_f16 v83, v32, s10, v49
	v_mul_f16_e32 v57, 0xbb47, v57
	v_add_f16_e32 v11, v11, v26
	v_add_f16_e32 v3, v9, v3
	v_fma_f16 v9, v53, s7, -v55
	v_add_f16_e32 v82, v83, v82
	v_fma_f16 v83, v50, s6, v52
	v_mul_f16_e32 v60, 0xbbeb, v60
	v_add_f16_e32 v11, v11, v30
	v_add_f16_e32 v3, v9, v3
	v_fma_f16 v9, v56, s11, v57
	v_add_f16_e32 v82, v83, v82
	v_fma_f16 v83, v53, s7, v55
	v_mul_f16_e32 v63, 0xba0c, v63
	v_add_f16_e32 v11, v11, v22
	v_add_f16_e32 v8, v9, v8
	v_fma_f16 v9, v59, s10, v60
	v_add_f16_e32 v82, v83, v82
	v_fma_f16 v83, v56, s11, -v57
	v_mul_f16_e32 v66, 0xb482, v66
	v_add_f16_e32 v10, v10, v15
	v_add_f16_e32 v11, v11, v28
	v_fma_f16 v15, v35, s6, -v74
	v_add_f16_e32 v8, v9, v8
	v_fma_f16 v9, v62, s6, v63
	v_add_f16_e32 v47, v83, v47
	v_fma_f16 v83, v59, s10, -v60
	v_add_f16_e32 v11, v11, v24
	v_add_f16_e32 v14, v15, v14
	v_fma_f16 v15, v32, s7, -v75
	v_add_f16_e32 v8, v9, v8
	v_fma_f16 v9, v65, s7, v66
	v_add_f16_e32 v47, v83, v47
	v_fma_f16 v83, v62, s6, -v63
	v_add_f16_e32 v10, v10, v16
	v_add_f16_e32 v11, v11, v25
	;; [unrolled: 1-line block ×3, first 2 shown]
	v_fma_f16 v15, v50, s10, -v76
	v_add_f16_e32 v8, v9, v8
	v_lshrrev_b32_e32 v9, 6, v2
	v_add_f16_e32 v47, v83, v47
	v_fma_f16 v83, v65, s7, -v66
	v_add_f16_e32 v10, v10, v17
	v_add_f16_e32 v11, v11, v21
	;; [unrolled: 1-line block ×3, first 2 shown]
	v_fma_f16 v15, v53, s12, -v77
	v_mul_u32_u24_e32 v9, 0x2c0, v9
	v_add_f16_e32 v47, v83, v47
	v_add_f16_e32 v10, v10, v20
	;; [unrolled: 1-line block ×4, first 2 shown]
	v_fma_f16 v15, v56, s6, v78
	v_or_b32_e32 v9, v9, v19
	v_add_f16_e32 v15, v15, v40
	v_fma_f16 v16, v59, s7, v79
	v_lshl_add_u32 v9, v9, 2, 0
	v_pack_b32_f16 v10, v10, v11
	v_pack_b32_f16 v11, v47, v82
	v_add_f16_e32 v15, v16, v15
	v_fma_f16 v16, v62, s10, v80
	ds_write2st64_b32 v9, v10, v11 offset1:1
	v_pack_b32_f16 v10, v46, v73
	v_pack_b32_f16 v11, v45, v48
	v_add_f16_e32 v15, v16, v15
	v_fma_f16 v16, v65, s12, v81
	ds_write2st64_b32 v9, v10, v11 offset0:2 offset1:3
	v_pack_b32_f16 v10, v37, v41
	v_pack_b32_f16 v11, v38, v68
	v_add_f16_e32 v15, v16, v15
	ds_write2st64_b32 v9, v10, v11 offset0:4 offset1:5
	v_pack_b32_f16 v10, v43, v69
	v_pack_b32_f16 v11, v44, v31
	ds_write2st64_b32 v9, v10, v11 offset0:6 offset1:7
	v_pack_b32_f16 v10, v13, v12
	v_pack_b32_f16 v11, v15, v14
	;; [unrolled: 1-line block ×3, first 2 shown]
	ds_write2st64_b32 v9, v10, v11 offset0:8 offset1:9
	ds_write_b32 v9, v3 offset:2560
.LBB0_21:
	s_or_b64 exec, exec, s[4:5]
	v_mov_b32_e32 v8, s9
	v_add_co_u32_e32 v3, vcc, s8, v4
	v_addc_co_u32_e32 v4, vcc, v8, v5, vcc
	v_add_co_u32_e32 v5, vcc, s8, v6
	s_movk_i32 s4, 0x1000
	v_addc_co_u32_e32 v6, vcc, v8, v7, vcc
	s_waitcnt lgkmcnt(0)
	s_barrier
	global_load_dword v11, v[3:4], off offset:2808
	global_load_dword v12, v[5:6], off offset:3512
	v_add_co_u32_e32 v3, vcc, s4, v5
	v_addc_co_u32_e32 v4, vcc, 0, v6, vcc
	global_load_dword v13, v[3:4], off offset:120
	global_load_dword v14, v[3:4], off offset:824
	v_add_u32_e32 v15, 0xa00, v18
	ds_read2_b32 v[3:4], v18 offset1:176
	v_add_u32_e32 v16, 0x500, v18
	v_add_u32_e32 v17, 0x1000, v18
	ds_read2_b32 v[5:6], v15 offset0:64 offset1:240
	ds_read2_b32 v[7:8], v16 offset0:32 offset1:208
	;; [unrolled: 1-line block ×3, first 2 shown]
	s_mov_b32 s4, 0xffff
	s_waitcnt vmcnt(0) lgkmcnt(0)
	s_barrier
	v_pk_mul_f16 v19, v11, v5 op_sel:[0,1]
	v_pk_mul_f16 v20, v12, v6 op_sel:[0,1]
	v_pk_fma_f16 v21, v11, v5, v19 op_sel:[0,0,1] op_sel_hi:[1,1,0] neg_lo:[0,0,1] neg_hi:[0,0,1]
	v_pk_fma_f16 v5, v11, v5, v19 op_sel:[0,0,1] op_sel_hi:[1,0,0]
	v_pk_fma_f16 v11, v12, v6, v20 op_sel:[0,0,1] op_sel_hi:[1,1,0] neg_lo:[0,0,1] neg_hi:[0,0,1]
	v_pk_fma_f16 v6, v12, v6, v20 op_sel:[0,0,1] op_sel_hi:[1,0,0]
	v_pk_mul_f16 v12, v13, v9 op_sel:[0,1]
	v_pk_mul_f16 v19, v14, v10 op_sel:[0,1]
	v_bfi_b32 v5, s4, v21, v5
	v_bfi_b32 v6, s4, v11, v6
	v_pk_fma_f16 v11, v13, v9, v12 op_sel:[0,0,1] op_sel_hi:[1,1,0] neg_lo:[0,0,1] neg_hi:[0,0,1]
	v_pk_fma_f16 v9, v13, v9, v12 op_sel:[0,0,1] op_sel_hi:[1,0,0]
	v_pk_fma_f16 v12, v14, v10, v19 op_sel:[0,0,1] op_sel_hi:[1,1,0] neg_lo:[0,0,1] neg_hi:[0,0,1]
	v_pk_fma_f16 v10, v14, v10, v19 op_sel:[0,0,1] op_sel_hi:[1,0,0]
	v_pk_add_f16 v5, v3, v5 neg_lo:[0,1] neg_hi:[0,1]
	v_pk_add_f16 v6, v4, v6 neg_lo:[0,1] neg_hi:[0,1]
	v_bfi_b32 v9, s4, v11, v9
	v_bfi_b32 v10, s4, v12, v10
	v_pk_fma_f16 v3, v3, 2.0, v5 op_sel_hi:[1,0,1] neg_lo:[0,0,1] neg_hi:[0,0,1]
	v_pk_fma_f16 v4, v4, 2.0, v6 op_sel_hi:[1,0,1] neg_lo:[0,0,1] neg_hi:[0,0,1]
	v_pk_add_f16 v9, v7, v9 neg_lo:[0,1] neg_hi:[0,1]
	v_pk_add_f16 v10, v8, v10 neg_lo:[0,1] neg_hi:[0,1]
	ds_write2_b32 v15, v5, v6 offset0:64 offset1:240
	v_pk_fma_f16 v5, v7, 2.0, v9 op_sel_hi:[1,0,1] neg_lo:[0,0,1] neg_hi:[0,0,1]
	v_pk_fma_f16 v6, v8, 2.0, v10 op_sel_hi:[1,0,1] neg_lo:[0,0,1] neg_hi:[0,0,1]
	ds_write2_b32 v18, v3, v4 offset1:176
	ds_write2_b32 v17, v9, v10 offset0:32 offset1:208
	ds_write2_b32 v16, v5, v6 offset0:32 offset1:208
	s_waitcnt lgkmcnt(0)
	s_barrier
	s_and_saveexec_b64 s[4:5], s[0:1]
	s_cbranch_execz .LBB0_23
; %bb.22:
	v_lshl_add_u32 v6, v2, 2, 0
	v_mov_b32_e32 v3, 0
	ds_read2_b32 v[4:5], v6 offset1:176
	v_mov_b32_e32 v7, s3
	v_add_co_u32_e32 v8, vcc, s2, v0
	v_addc_co_u32_e32 v7, vcc, v7, v1, vcc
	v_lshlrev_b64 v[0:1], 2, v[2:3]
	v_add_co_u32_e32 v0, vcc, v8, v0
	v_addc_co_u32_e32 v1, vcc, v7, v1, vcc
	s_waitcnt lgkmcnt(0)
	global_store_dword v[0:1], v4, off
	v_add_u32_e32 v0, 0xb0, v2
	v_mov_b32_e32 v1, v3
	v_lshlrev_b64 v[0:1], 2, v[0:1]
	v_add_u32_e32 v4, 0x500, v6
	v_add_co_u32_e32 v0, vcc, v8, v0
	v_addc_co_u32_e32 v1, vcc, v7, v1, vcc
	global_store_dword v[0:1], v5, off
	v_add_u32_e32 v0, 0x160, v2
	v_mov_b32_e32 v1, v3
	ds_read2_b32 v[4:5], v4 offset0:32 offset1:208
	v_lshlrev_b64 v[0:1], 2, v[0:1]
	v_add_co_u32_e32 v0, vcc, v8, v0
	v_addc_co_u32_e32 v1, vcc, v7, v1, vcc
	s_waitcnt lgkmcnt(0)
	global_store_dword v[0:1], v4, off
	v_add_u32_e32 v0, 0x210, v2
	v_mov_b32_e32 v1, v3
	v_lshlrev_b64 v[0:1], 2, v[0:1]
	v_add_u32_e32 v4, 0xa00, v6
	v_add_co_u32_e32 v0, vcc, v8, v0
	v_addc_co_u32_e32 v1, vcc, v7, v1, vcc
	global_store_dword v[0:1], v5, off
	v_add_u32_e32 v0, 0x2c0, v2
	v_mov_b32_e32 v1, v3
	ds_read2_b32 v[4:5], v4 offset0:64 offset1:240
	;; [unrolled: 15-line block ×3, first 2 shown]
	v_lshlrev_b64 v[0:1], 2, v[0:1]
	v_add_u32_e32 v2, 0x4d0, v2
	v_add_co_u32_e32 v0, vcc, v8, v0
	v_addc_co_u32_e32 v1, vcc, v7, v1, vcc
	s_waitcnt lgkmcnt(0)
	global_store_dword v[0:1], v4, off
	v_lshlrev_b64 v[0:1], 2, v[2:3]
	v_add_co_u32_e32 v0, vcc, v8, v0
	v_addc_co_u32_e32 v1, vcc, v7, v1, vcc
	global_store_dword v[0:1], v5, off
.LBB0_23:
	s_endpgm
	.section	.rodata,"a",@progbits
	.p2align	6, 0x0
	.amdhsa_kernel fft_rtc_fwd_len1408_factors_2_2_2_2_2_2_11_2_wgs_176_tpt_176_halfLds_half_ip_CI_unitstride_sbrr_C2R_dirReg
		.amdhsa_group_segment_fixed_size 0
		.amdhsa_private_segment_fixed_size 0
		.amdhsa_kernarg_size 88
		.amdhsa_user_sgpr_count 6
		.amdhsa_user_sgpr_private_segment_buffer 1
		.amdhsa_user_sgpr_dispatch_ptr 0
		.amdhsa_user_sgpr_queue_ptr 0
		.amdhsa_user_sgpr_kernarg_segment_ptr 1
		.amdhsa_user_sgpr_dispatch_id 0
		.amdhsa_user_sgpr_flat_scratch_init 0
		.amdhsa_user_sgpr_private_segment_size 0
		.amdhsa_uses_dynamic_stack 0
		.amdhsa_system_sgpr_private_segment_wavefront_offset 0
		.amdhsa_system_sgpr_workgroup_id_x 1
		.amdhsa_system_sgpr_workgroup_id_y 0
		.amdhsa_system_sgpr_workgroup_id_z 0
		.amdhsa_system_sgpr_workgroup_info 0
		.amdhsa_system_vgpr_workitem_id 0
		.amdhsa_next_free_vgpr 84
		.amdhsa_next_free_sgpr 22
		.amdhsa_reserve_vcc 1
		.amdhsa_reserve_flat_scratch 0
		.amdhsa_float_round_mode_32 0
		.amdhsa_float_round_mode_16_64 0
		.amdhsa_float_denorm_mode_32 3
		.amdhsa_float_denorm_mode_16_64 3
		.amdhsa_dx10_clamp 1
		.amdhsa_ieee_mode 1
		.amdhsa_fp16_overflow 0
		.amdhsa_exception_fp_ieee_invalid_op 0
		.amdhsa_exception_fp_denorm_src 0
		.amdhsa_exception_fp_ieee_div_zero 0
		.amdhsa_exception_fp_ieee_overflow 0
		.amdhsa_exception_fp_ieee_underflow 0
		.amdhsa_exception_fp_ieee_inexact 0
		.amdhsa_exception_int_div_zero 0
	.end_amdhsa_kernel
	.text
.Lfunc_end0:
	.size	fft_rtc_fwd_len1408_factors_2_2_2_2_2_2_11_2_wgs_176_tpt_176_halfLds_half_ip_CI_unitstride_sbrr_C2R_dirReg, .Lfunc_end0-fft_rtc_fwd_len1408_factors_2_2_2_2_2_2_11_2_wgs_176_tpt_176_halfLds_half_ip_CI_unitstride_sbrr_C2R_dirReg
                                        ; -- End function
	.section	.AMDGPU.csdata,"",@progbits
; Kernel info:
; codeLenInByte = 7640
; NumSgprs: 26
; NumVgprs: 84
; ScratchSize: 0
; MemoryBound: 0
; FloatMode: 240
; IeeeMode: 1
; LDSByteSize: 0 bytes/workgroup (compile time only)
; SGPRBlocks: 3
; VGPRBlocks: 20
; NumSGPRsForWavesPerEU: 26
; NumVGPRsForWavesPerEU: 84
; Occupancy: 3
; WaveLimiterHint : 1
; COMPUTE_PGM_RSRC2:SCRATCH_EN: 0
; COMPUTE_PGM_RSRC2:USER_SGPR: 6
; COMPUTE_PGM_RSRC2:TRAP_HANDLER: 0
; COMPUTE_PGM_RSRC2:TGID_X_EN: 1
; COMPUTE_PGM_RSRC2:TGID_Y_EN: 0
; COMPUTE_PGM_RSRC2:TGID_Z_EN: 0
; COMPUTE_PGM_RSRC2:TIDIG_COMP_CNT: 0
	.type	__hip_cuid_b31e24fdb7ab43c,@object ; @__hip_cuid_b31e24fdb7ab43c
	.section	.bss,"aw",@nobits
	.globl	__hip_cuid_b31e24fdb7ab43c
__hip_cuid_b31e24fdb7ab43c:
	.byte	0                               ; 0x0
	.size	__hip_cuid_b31e24fdb7ab43c, 1

	.ident	"AMD clang version 19.0.0git (https://github.com/RadeonOpenCompute/llvm-project roc-6.4.0 25133 c7fe45cf4b819c5991fe208aaa96edf142730f1d)"
	.section	".note.GNU-stack","",@progbits
	.addrsig
	.addrsig_sym __hip_cuid_b31e24fdb7ab43c
	.amdgpu_metadata
---
amdhsa.kernels:
  - .args:
      - .actual_access:  read_only
        .address_space:  global
        .offset:         0
        .size:           8
        .value_kind:     global_buffer
      - .offset:         8
        .size:           8
        .value_kind:     by_value
      - .actual_access:  read_only
        .address_space:  global
        .offset:         16
        .size:           8
        .value_kind:     global_buffer
      - .actual_access:  read_only
        .address_space:  global
        .offset:         24
        .size:           8
        .value_kind:     global_buffer
      - .offset:         32
        .size:           8
        .value_kind:     by_value
      - .actual_access:  read_only
        .address_space:  global
        .offset:         40
        .size:           8
        .value_kind:     global_buffer
      - .actual_access:  read_only
        .address_space:  global
        .offset:         48
        .size:           8
        .value_kind:     global_buffer
      - .offset:         56
        .size:           4
        .value_kind:     by_value
      - .actual_access:  read_only
        .address_space:  global
        .offset:         64
        .size:           8
        .value_kind:     global_buffer
      - .actual_access:  read_only
        .address_space:  global
        .offset:         72
        .size:           8
        .value_kind:     global_buffer
      - .address_space:  global
        .offset:         80
        .size:           8
        .value_kind:     global_buffer
    .group_segment_fixed_size: 0
    .kernarg_segment_align: 8
    .kernarg_segment_size: 88
    .language:       OpenCL C
    .language_version:
      - 2
      - 0
    .max_flat_workgroup_size: 176
    .name:           fft_rtc_fwd_len1408_factors_2_2_2_2_2_2_11_2_wgs_176_tpt_176_halfLds_half_ip_CI_unitstride_sbrr_C2R_dirReg
    .private_segment_fixed_size: 0
    .sgpr_count:     26
    .sgpr_spill_count: 0
    .symbol:         fft_rtc_fwd_len1408_factors_2_2_2_2_2_2_11_2_wgs_176_tpt_176_halfLds_half_ip_CI_unitstride_sbrr_C2R_dirReg.kd
    .uniform_work_group_size: 1
    .uses_dynamic_stack: false
    .vgpr_count:     84
    .vgpr_spill_count: 0
    .wavefront_size: 64
amdhsa.target:   amdgcn-amd-amdhsa--gfx906
amdhsa.version:
  - 1
  - 2
...

	.end_amdgpu_metadata
